;; amdgpu-corpus repo=ROCm/rocFFT kind=compiled arch=gfx1030 opt=O3
	.text
	.amdgcn_target "amdgcn-amd-amdhsa--gfx1030"
	.amdhsa_code_object_version 6
	.protected	fft_rtc_fwd_len416_factors_13_2_16_wgs_64_tpt_32_sp_ip_CI_unitstride_sbrr_C2R_dirReg ; -- Begin function fft_rtc_fwd_len416_factors_13_2_16_wgs_64_tpt_32_sp_ip_CI_unitstride_sbrr_C2R_dirReg
	.globl	fft_rtc_fwd_len416_factors_13_2_16_wgs_64_tpt_32_sp_ip_CI_unitstride_sbrr_C2R_dirReg
	.p2align	8
	.type	fft_rtc_fwd_len416_factors_13_2_16_wgs_64_tpt_32_sp_ip_CI_unitstride_sbrr_C2R_dirReg,@function
fft_rtc_fwd_len416_factors_13_2_16_wgs_64_tpt_32_sp_ip_CI_unitstride_sbrr_C2R_dirReg: ; @fft_rtc_fwd_len416_factors_13_2_16_wgs_64_tpt_32_sp_ip_CI_unitstride_sbrr_C2R_dirReg
; %bb.0:
	s_clause 0x2
	s_load_dwordx4 s[8:11], s[4:5], 0x0
	s_load_dwordx2 s[2:3], s[4:5], 0x50
	s_load_dwordx2 s[12:13], s[4:5], 0x18
	v_lshrrev_b32_e32 v1, 5, v0
	v_mov_b32_e32 v3, 0
	v_lshl_or_b32 v5, s6, 1, v1
	v_mov_b32_e32 v1, 0
	v_mov_b32_e32 v6, v3
	v_mov_b32_e32 v2, 0
	s_waitcnt lgkmcnt(0)
	v_cmp_lt_u64_e64 s0, s[10:11], 2
	s_and_b32 vcc_lo, exec_lo, s0
	s_cbranch_vccnz .LBB0_8
; %bb.1:
	s_load_dwordx2 s[0:1], s[4:5], 0x10
	v_mov_b32_e32 v1, 0
	s_add_u32 s6, s12, 8
	v_mov_b32_e32 v2, 0
	s_addc_u32 s7, s13, 0
	s_mov_b64 s[16:17], 1
	s_waitcnt lgkmcnt(0)
	s_add_u32 s14, s0, 8
	s_addc_u32 s15, s1, 0
.LBB0_2:                                ; =>This Inner Loop Header: Depth=1
	s_load_dwordx2 s[18:19], s[14:15], 0x0
                                        ; implicit-def: $vgpr7_vgpr8
	s_mov_b32 s0, exec_lo
	s_waitcnt lgkmcnt(0)
	v_or_b32_e32 v4, s19, v6
	v_cmpx_ne_u64_e32 0, v[3:4]
	s_xor_b32 s1, exec_lo, s0
	s_cbranch_execz .LBB0_4
; %bb.3:                                ;   in Loop: Header=BB0_2 Depth=1
	v_cvt_f32_u32_e32 v4, s18
	v_cvt_f32_u32_e32 v7, s19
	s_sub_u32 s0, 0, s18
	s_subb_u32 s20, 0, s19
	v_fmac_f32_e32 v4, 0x4f800000, v7
	v_rcp_f32_e32 v4, v4
	v_mul_f32_e32 v4, 0x5f7ffffc, v4
	v_mul_f32_e32 v7, 0x2f800000, v4
	v_trunc_f32_e32 v7, v7
	v_fmac_f32_e32 v4, 0xcf800000, v7
	v_cvt_u32_f32_e32 v7, v7
	v_cvt_u32_f32_e32 v4, v4
	v_mul_lo_u32 v8, s0, v7
	v_mul_hi_u32 v9, s0, v4
	v_mul_lo_u32 v10, s20, v4
	v_add_nc_u32_e32 v8, v9, v8
	v_mul_lo_u32 v9, s0, v4
	v_add_nc_u32_e32 v8, v8, v10
	v_mul_hi_u32 v10, v4, v9
	v_mul_lo_u32 v11, v4, v8
	v_mul_hi_u32 v12, v4, v8
	v_mul_hi_u32 v13, v7, v9
	v_mul_lo_u32 v9, v7, v9
	v_mul_hi_u32 v14, v7, v8
	v_mul_lo_u32 v8, v7, v8
	v_add_co_u32 v10, vcc_lo, v10, v11
	v_add_co_ci_u32_e32 v11, vcc_lo, 0, v12, vcc_lo
	v_add_co_u32 v9, vcc_lo, v10, v9
	v_add_co_ci_u32_e32 v9, vcc_lo, v11, v13, vcc_lo
	v_add_co_ci_u32_e32 v10, vcc_lo, 0, v14, vcc_lo
	v_add_co_u32 v8, vcc_lo, v9, v8
	v_add_co_ci_u32_e32 v9, vcc_lo, 0, v10, vcc_lo
	v_add_co_u32 v4, vcc_lo, v4, v8
	v_add_co_ci_u32_e32 v7, vcc_lo, v7, v9, vcc_lo
	v_mul_hi_u32 v8, s0, v4
	v_mul_lo_u32 v10, s20, v4
	v_mul_lo_u32 v9, s0, v7
	v_add_nc_u32_e32 v8, v8, v9
	v_mul_lo_u32 v9, s0, v4
	v_add_nc_u32_e32 v8, v8, v10
	v_mul_hi_u32 v10, v4, v9
	v_mul_lo_u32 v11, v4, v8
	v_mul_hi_u32 v12, v4, v8
	v_mul_hi_u32 v13, v7, v9
	v_mul_lo_u32 v9, v7, v9
	v_mul_hi_u32 v14, v7, v8
	v_mul_lo_u32 v8, v7, v8
	v_add_co_u32 v10, vcc_lo, v10, v11
	v_add_co_ci_u32_e32 v11, vcc_lo, 0, v12, vcc_lo
	v_add_co_u32 v9, vcc_lo, v10, v9
	v_add_co_ci_u32_e32 v9, vcc_lo, v11, v13, vcc_lo
	v_add_co_ci_u32_e32 v10, vcc_lo, 0, v14, vcc_lo
	v_add_co_u32 v8, vcc_lo, v9, v8
	v_add_co_ci_u32_e32 v9, vcc_lo, 0, v10, vcc_lo
	v_add_co_u32 v4, vcc_lo, v4, v8
	v_add_co_ci_u32_e32 v11, vcc_lo, v7, v9, vcc_lo
	v_mul_hi_u32 v13, v5, v4
	v_mad_u64_u32 v[9:10], null, v6, v4, 0
	v_mad_u64_u32 v[7:8], null, v5, v11, 0
	;; [unrolled: 1-line block ×3, first 2 shown]
	v_add_co_u32 v4, vcc_lo, v13, v7
	v_add_co_ci_u32_e32 v7, vcc_lo, 0, v8, vcc_lo
	v_add_co_u32 v4, vcc_lo, v4, v9
	v_add_co_ci_u32_e32 v4, vcc_lo, v7, v10, vcc_lo
	v_add_co_ci_u32_e32 v7, vcc_lo, 0, v12, vcc_lo
	v_add_co_u32 v4, vcc_lo, v4, v11
	v_add_co_ci_u32_e32 v9, vcc_lo, 0, v7, vcc_lo
	v_mul_lo_u32 v10, s19, v4
	v_mad_u64_u32 v[7:8], null, s18, v4, 0
	v_mul_lo_u32 v11, s18, v9
	v_sub_co_u32 v7, vcc_lo, v5, v7
	v_add3_u32 v8, v8, v11, v10
	v_sub_nc_u32_e32 v10, v6, v8
	v_subrev_co_ci_u32_e64 v10, s0, s19, v10, vcc_lo
	v_add_co_u32 v11, s0, v4, 2
	v_add_co_ci_u32_e64 v12, s0, 0, v9, s0
	v_sub_co_u32 v13, s0, v7, s18
	v_sub_co_ci_u32_e32 v8, vcc_lo, v6, v8, vcc_lo
	v_subrev_co_ci_u32_e64 v10, s0, 0, v10, s0
	v_cmp_le_u32_e32 vcc_lo, s18, v13
	v_cmp_eq_u32_e64 s0, s19, v8
	v_cndmask_b32_e64 v13, 0, -1, vcc_lo
	v_cmp_le_u32_e32 vcc_lo, s19, v10
	v_cndmask_b32_e64 v14, 0, -1, vcc_lo
	v_cmp_le_u32_e32 vcc_lo, s18, v7
	;; [unrolled: 2-line block ×3, first 2 shown]
	v_cndmask_b32_e64 v15, 0, -1, vcc_lo
	v_cmp_eq_u32_e32 vcc_lo, s19, v10
	v_cndmask_b32_e64 v7, v15, v7, s0
	v_cndmask_b32_e32 v10, v14, v13, vcc_lo
	v_add_co_u32 v13, vcc_lo, v4, 1
	v_add_co_ci_u32_e32 v14, vcc_lo, 0, v9, vcc_lo
	v_cmp_ne_u32_e32 vcc_lo, 0, v10
	v_cndmask_b32_e32 v8, v14, v12, vcc_lo
	v_cndmask_b32_e32 v10, v13, v11, vcc_lo
	v_cmp_ne_u32_e32 vcc_lo, 0, v7
	v_cndmask_b32_e32 v8, v9, v8, vcc_lo
	v_cndmask_b32_e32 v7, v4, v10, vcc_lo
.LBB0_4:                                ;   in Loop: Header=BB0_2 Depth=1
	s_andn2_saveexec_b32 s0, s1
	s_cbranch_execz .LBB0_6
; %bb.5:                                ;   in Loop: Header=BB0_2 Depth=1
	v_cvt_f32_u32_e32 v4, s18
	s_sub_i32 s1, 0, s18
	v_rcp_iflag_f32_e32 v4, v4
	v_mul_f32_e32 v4, 0x4f7ffffe, v4
	v_cvt_u32_f32_e32 v4, v4
	v_mul_lo_u32 v7, s1, v4
	v_mul_hi_u32 v7, v4, v7
	v_add_nc_u32_e32 v4, v4, v7
	v_mul_hi_u32 v4, v5, v4
	v_mul_lo_u32 v7, v4, s18
	v_add_nc_u32_e32 v8, 1, v4
	v_sub_nc_u32_e32 v7, v5, v7
	v_subrev_nc_u32_e32 v9, s18, v7
	v_cmp_le_u32_e32 vcc_lo, s18, v7
	v_cndmask_b32_e32 v7, v7, v9, vcc_lo
	v_cndmask_b32_e32 v4, v4, v8, vcc_lo
	v_cmp_le_u32_e32 vcc_lo, s18, v7
	v_add_nc_u32_e32 v8, 1, v4
	v_cndmask_b32_e32 v7, v4, v8, vcc_lo
	v_mov_b32_e32 v8, v3
.LBB0_6:                                ;   in Loop: Header=BB0_2 Depth=1
	s_or_b32 exec_lo, exec_lo, s0
	s_load_dwordx2 s[0:1], s[6:7], 0x0
	v_mul_lo_u32 v4, v8, s18
	v_mul_lo_u32 v11, v7, s19
	v_mad_u64_u32 v[9:10], null, v7, s18, 0
	s_add_u32 s16, s16, 1
	s_addc_u32 s17, s17, 0
	s_add_u32 s6, s6, 8
	s_addc_u32 s7, s7, 0
	;; [unrolled: 2-line block ×3, first 2 shown]
	v_add3_u32 v4, v10, v11, v4
	v_sub_co_u32 v5, vcc_lo, v5, v9
	v_sub_co_ci_u32_e32 v4, vcc_lo, v6, v4, vcc_lo
	s_waitcnt lgkmcnt(0)
	v_mul_lo_u32 v6, s1, v5
	v_mul_lo_u32 v4, s0, v4
	v_mad_u64_u32 v[1:2], null, s0, v5, v[1:2]
	v_cmp_ge_u64_e64 s0, s[16:17], s[10:11]
	s_and_b32 vcc_lo, exec_lo, s0
	v_add3_u32 v2, v6, v2, v4
	s_cbranch_vccnz .LBB0_9
; %bb.7:                                ;   in Loop: Header=BB0_2 Depth=1
	v_mov_b32_e32 v5, v7
	v_mov_b32_e32 v6, v8
	s_branch .LBB0_2
.LBB0_8:
	v_mov_b32_e32 v8, v6
	v_mov_b32_e32 v7, v5
.LBB0_9:
	s_lshl_b64 s[0:1], s[10:11], 3
	v_and_b32_e32 v32, 31, v0
	s_add_u32 s0, s12, s0
	s_addc_u32 s1, s13, s1
	s_load_dwordx2 s[0:1], s[0:1], 0x0
	s_load_dwordx2 s[4:5], s[4:5], 0x20
	s_waitcnt lgkmcnt(0)
	v_mad_u64_u32 v[2:3], null, s0, v7, v[1:2]
	v_and_b32_e32 v1, 32, v0
	v_mul_lo_u32 v4, s0, v8
	v_mul_lo_u32 v5, s1, v7
	v_cmp_ne_u32_e32 vcc_lo, 0, v1
	v_add3_u32 v3, v5, v3, v4
	v_cndmask_b32_e64 v1, 0, 0x1a1, vcc_lo
	v_cmp_gt_u64_e32 vcc_lo, s[4:5], v[7:8]
	v_lshlrev_b64 v[34:35], 3, v[2:3]
	v_lshlrev_b32_e32 v40, 3, v1
	s_and_saveexec_b32 s1, vcc_lo
	s_cbranch_execz .LBB0_13
; %bb.10:
	v_lshlrev_b32_e32 v31, 3, v32
	v_add_co_u32 v0, s0, s2, v34
	v_add_co_ci_u32_e64 v2, s0, s3, v35, s0
	v_or_b32_e32 v21, 0x800, v31
	v_add_co_u32 v3, s0, v0, v31
	v_add_co_ci_u32_e64 v4, s0, 0, v2, s0
	v_or_b32_e32 v22, 0x900, v31
	v_or_b32_e32 v23, 0xa00, v31
	s_clause 0x7
	global_load_dwordx2 v[5:6], v[3:4], off
	global_load_dwordx2 v[7:8], v[3:4], off offset:256
	global_load_dwordx2 v[9:10], v[3:4], off offset:512
	;; [unrolled: 1-line block ×7, first 2 shown]
	v_add_co_u32 v3, s0, v0, v21
	v_add_co_ci_u32_e64 v4, s0, 0, v2, s0
	v_add_co_u32 v21, s0, v0, v22
	v_or_b32_e32 v25, 0xb00, v31
	v_add_co_ci_u32_e64 v22, s0, 0, v2, s0
	v_add_co_u32 v23, s0, v0, v23
	v_or_b32_e32 v27, 0xc00, v31
	v_add_co_ci_u32_e64 v24, s0, 0, v2, s0
	v_add_co_u32 v25, s0, v0, v25
	v_add_co_ci_u32_e64 v26, s0, 0, v2, s0
	v_add_co_u32 v27, s0, v0, v27
	v_add_co_ci_u32_e64 v28, s0, 0, v2, s0
	s_clause 0x4
	global_load_dwordx2 v[29:30], v[3:4], off
	global_load_dwordx2 v[21:22], v[21:22], off
	;; [unrolled: 1-line block ×5, first 2 shown]
	v_add3_u32 v3, 0, v40, v31
	s_mov_b32 s4, exec_lo
	v_add_nc_u32_e32 v4, 0x800, v3
	s_waitcnt vmcnt(11)
	ds_write2_b64 v3, v[5:6], v[7:8] offset1:32
	s_waitcnt vmcnt(9)
	ds_write2_b64 v3, v[9:10], v[11:12] offset0:64 offset1:96
	s_waitcnt vmcnt(7)
	ds_write2_b64 v3, v[13:14], v[15:16] offset0:128 offset1:160
	;; [unrolled: 2-line block ×3, first 2 shown]
	s_waitcnt vmcnt(3)
	ds_write2_b64 v4, v[29:30], v[21:22] offset1:32
	s_waitcnt vmcnt(1)
	ds_write2_b64 v4, v[23:24], v[25:26] offset0:64 offset1:96
	s_waitcnt vmcnt(0)
	ds_write_b64 v3, v[27:28] offset:3072
	v_cmpx_eq_u32_e32 31, v32
	s_cbranch_execz .LBB0_12
; %bb.11:
	v_add_co_u32 v4, s0, 0x800, v0
	v_add_co_ci_u32_e64 v5, s0, 0, v2, s0
	v_mov_b32_e32 v32, 31
	global_load_dwordx2 v[4:5], v[4:5], off offset:1280
	s_waitcnt vmcnt(0)
	ds_write_b64 v3, v[4:5] offset:3080
.LBB0_12:
	s_or_b32 exec_lo, exec_lo, s4
.LBB0_13:
	s_or_b32 exec_lo, exec_lo, s1
	v_lshl_add_u32 v38, v1, 3, 0
	v_lshlrev_b32_e32 v4, 3, v32
	s_waitcnt lgkmcnt(0)
	s_barrier
	buffer_gl0_inv
	v_cmp_ne_u32_e64 s0, 0, v32
	v_add_nc_u32_e32 v39, v38, v4
	v_sub_nc_u32_e32 v5, v38, v4
	s_add_u32 s4, s8, 0xc98
	s_addc_u32 s5, s9, 0
	ds_read_b32 v6, v39
	ds_read_b32 v7, v5 offset:3328
                                        ; implicit-def: $vgpr0_vgpr1
	s_waitcnt lgkmcnt(0)
	v_add_f32_e32 v2, v7, v6
	v_sub_f32_e32 v3, v6, v7
	s_and_saveexec_b32 s1, s0
	s_xor_b32 s0, exec_lo, s1
	s_cbranch_execz .LBB0_15
; %bb.14:
	global_load_dwordx2 v[0:1], v4, s[4:5]
	ds_read_b32 v2, v5 offset:3332
	ds_read_b32 v3, v39 offset:4
	v_add_f32_e32 v8, v7, v6
	v_sub_f32_e32 v9, v6, v7
	v_mov_b32_e32 v33, 0
	s_waitcnt lgkmcnt(0)
	v_add_f32_e32 v10, v2, v3
	v_sub_f32_e32 v2, v3, v2
	s_waitcnt vmcnt(0)
	v_fma_f32 v6, -v9, v1, v8
	v_fma_f32 v7, v10, v1, -v2
	v_fma_f32 v11, v9, v1, v8
	v_fma_f32 v3, v10, v1, v2
	v_fmac_f32_e32 v6, v0, v10
	v_fmac_f32_e32 v7, v9, v0
	v_fma_f32 v2, -v0, v10, v11
	v_fmac_f32_e32 v3, v9, v0
	v_mov_b32_e32 v0, v32
	v_mov_b32_e32 v1, v33
	ds_write_b64 v5, v[6:7] offset:3328
.LBB0_15:
	s_andn2_saveexec_b32 s0, s0
	s_cbranch_execz .LBB0_17
; %bb.16:
	ds_read_b64 v[0:1], v38 offset:1664
	s_waitcnt lgkmcnt(0)
	v_add_f32_e32 v6, v0, v0
	v_mul_f32_e32 v7, -2.0, v1
	v_mov_b32_e32 v0, 0
	v_mov_b32_e32 v1, 0
	ds_write_b64 v38, v[6:7] offset:1664
.LBB0_17:
	s_or_b32 exec_lo, exec_lo, s0
	v_lshlrev_b64 v[0:1], 3, v[0:1]
	s_mov_b32 s1, exec_lo
	v_add_co_u32 v0, s0, s4, v0
	v_add_co_ci_u32_e64 v1, s0, s5, v1, s0
	s_clause 0x4
	global_load_dwordx2 v[6:7], v[0:1], off offset:256
	global_load_dwordx2 v[8:9], v[0:1], off offset:512
	;; [unrolled: 1-line block ×5, first 2 shown]
	ds_write_b64 v39, v[2:3]
	ds_read_b64 v[2:3], v39 offset:256
	ds_read_b64 v[16:17], v5 offset:3072
	s_waitcnt lgkmcnt(0)
	v_add_f32_e32 v18, v2, v16
	v_add_f32_e32 v19, v17, v3
	v_sub_f32_e32 v20, v2, v16
	v_sub_f32_e32 v2, v3, v17
	s_waitcnt vmcnt(4)
	v_fma_f32 v21, v20, v7, v18
	v_fma_f32 v3, v19, v7, v2
	v_fma_f32 v16, -v20, v7, v18
	v_fma_f32 v17, v19, v7, -v2
	v_fma_f32 v2, -v6, v19, v21
	v_fmac_f32_e32 v3, v20, v6
	v_fmac_f32_e32 v16, v6, v19
	;; [unrolled: 1-line block ×3, first 2 shown]
	v_or_b32_e32 v20, 0xc0, v32
	ds_write_b64 v39, v[2:3] offset:256
	ds_write_b64 v5, v[16:17] offset:3072
	ds_read_b64 v[2:3], v39 offset:512
	ds_read_b64 v[6:7], v5 offset:2816
	s_waitcnt lgkmcnt(0)
	v_add_f32_e32 v16, v2, v6
	v_add_f32_e32 v17, v7, v3
	v_sub_f32_e32 v18, v2, v6
	v_sub_f32_e32 v2, v3, v7
	s_waitcnt vmcnt(3)
	v_fma_f32 v19, v18, v9, v16
	v_fma_f32 v3, v17, v9, v2
	v_fma_f32 v6, -v18, v9, v16
	v_fma_f32 v7, v17, v9, -v2
	v_fma_f32 v2, -v8, v17, v19
	v_fmac_f32_e32 v3, v18, v8
	v_fmac_f32_e32 v6, v8, v17
	v_fmac_f32_e32 v7, v18, v8
	ds_write_b64 v39, v[2:3] offset:512
	ds_write_b64 v5, v[6:7] offset:2816
	ds_read_b64 v[2:3], v39 offset:768
	ds_read_b64 v[6:7], v5 offset:2560
	s_waitcnt lgkmcnt(0)
	v_add_f32_e32 v8, v2, v6
	v_add_f32_e32 v9, v7, v3
	v_sub_f32_e32 v16, v2, v6
	v_sub_f32_e32 v2, v3, v7
	s_waitcnt vmcnt(2)
	v_fma_f32 v17, v16, v11, v8
	v_fma_f32 v3, v9, v11, v2
	v_fma_f32 v6, -v16, v11, v8
	v_fma_f32 v7, v9, v11, -v2
	v_fma_f32 v2, -v10, v9, v17
	v_fmac_f32_e32 v3, v16, v10
	v_fmac_f32_e32 v6, v10, v9
	v_fmac_f32_e32 v7, v16, v10
	;; [unrolled: 18-line block ×4, first 2 shown]
	ds_write_b64 v39, v[2:3] offset:1280
	ds_write_b64 v5, v[6:7] offset:2048
	v_cmpx_gt_u32_e32 0xd0, v20
	s_cbranch_execz .LBB0_19
; %bb.18:
	global_load_dwordx2 v[0:1], v[0:1], off offset:1536
	ds_read_b64 v[2:3], v39 offset:1536
	ds_read_b64 v[6:7], v5 offset:1792
	s_waitcnt lgkmcnt(0)
	v_add_f32_e32 v8, v2, v6
	v_add_f32_e32 v9, v7, v3
	v_sub_f32_e32 v10, v2, v6
	v_sub_f32_e32 v3, v3, v7
	s_waitcnt vmcnt(0)
	v_fma_f32 v11, v10, v1, v8
	v_fma_f32 v2, v9, v1, v3
	v_fma_f32 v6, -v10, v1, v8
	v_fma_f32 v7, v9, v1, -v3
	v_fma_f32 v1, -v0, v9, v11
	v_fmac_f32_e32 v2, v10, v0
	v_fmac_f32_e32 v6, v0, v9
	;; [unrolled: 1-line block ×3, first 2 shown]
	ds_write_b64 v39, v[1:2] offset:1536
	ds_write_b64 v5, v[6:7] offset:1792
.LBB0_19:
	s_or_b32 exec_lo, exec_lo, s1
	v_add3_u32 v33, 0, v4, v40
	s_waitcnt lgkmcnt(0)
	s_barrier
	buffer_gl0_inv
	s_barrier
	buffer_gl0_inv
	ds_read_b64 v[15:16], v39
	ds_read2_b64 v[11:14], v33 offset0:32 offset1:64
	v_add_nc_u32_e32 v18, 0x800, v33
	v_add_nc_u32_e32 v10, 0x400, v33
	ds_read2_b64 v[21:24], v18 offset0:96 offset1:128
	ds_read2_b64 v[25:28], v33 offset0:96 offset1:128
	;; [unrolled: 1-line block ×5, first 2 shown]
	s_waitcnt lgkmcnt(0)
	s_barrier
	buffer_gl0_inv
	v_cmp_gt_u32_e64 s0, 16, v32
	v_add_f32_e32 v9, v16, v12
	v_add_f32_e32 v8, v15, v11
	;; [unrolled: 1-line block ×5, first 2 shown]
	v_sub_f32_e32 v11, v11, v23
	v_sub_f32_e32 v19, v12, v24
	v_add_f32_e32 v9, v9, v26
	v_add_f32_e32 v8, v8, v25
	;; [unrolled: 1-line block ×3, first 2 shown]
	v_mul_f32_e32 v47, 0xbf6f5d39, v11
	v_mul_f32_e32 v29, 0xbeedf032, v19
	v_add_f32_e32 v9, v9, v28
	v_add_f32_e32 v8, v8, v27
	v_mul_f32_e32 v30, 0xbeedf032, v11
	v_mul_f32_e32 v36, 0xbf52af12, v11
	;; [unrolled: 1-line block ×3, first 2 shown]
	v_add_f32_e32 v9, v9, v1
	v_add_f32_e32 v8, v8, v0
	v_fmamk_f32 v55, v12, 0xbeb58ec6, v47
	v_add_f32_e32 v57, v22, v14
	v_sub_f32_e32 v14, v14, v22
	v_add_f32_e32 v9, v9, v3
	v_add_f32_e32 v8, v8, v2
	v_mul_f32_e32 v31, 0xbf52af12, v19
	v_mul_f32_e32 v37, 0xbf7e222b, v19
	;; [unrolled: 1-line block ×3, first 2 shown]
	v_add_f32_e32 v9, v9, v5
	v_add_f32_e32 v8, v8, v4
	v_fma_f32 v48, 0x3f62ad3f, v17, -v29
	v_fmamk_f32 v49, v12, 0x3f62ad3f, v30
	v_fma_f32 v30, 0x3f62ad3f, v12, -v30
	v_add_f32_e32 v9, v9, v7
	v_add_f32_e32 v8, v8, v6
	v_fmamk_f32 v51, v12, 0x3f116cb1, v36
	v_fma_f32 v36, 0x3f116cb1, v12, -v36
	v_fmamk_f32 v53, v12, 0x3df6dbef, v45
	v_add_f32_e32 v9, v9, v42
	v_add_f32_e32 v8, v8, v41
	v_fma_f32 v45, 0x3df6dbef, v12, -v45
	v_fma_f32 v47, 0xbeb58ec6, v12, -v47
	v_add_f32_e32 v56, v21, v13
	v_add_f32_e32 v9, v9, v44
	;; [unrolled: 1-line block ×3, first 2 shown]
	v_sub_f32_e32 v13, v13, v21
	v_mul_f32_e32 v59, 0xbf52af12, v14
	v_fmac_f32_e32 v29, 0x3f62ad3f, v17
	v_add_f32_e32 v9, v9, v22
	v_add_f32_e32 v8, v8, v21
	;; [unrolled: 1-line block ×3, first 2 shown]
	v_fma_f32 v50, 0x3f116cb1, v17, -v31
	v_fmac_f32_e32 v31, 0x3f116cb1, v17
	v_add_f32_e32 v9, v9, v24
	v_mul_f32_e32 v24, 0xbf29c268, v11
	v_mul_f32_e32 v11, 0xbe750f2a, v11
	v_add_f32_e32 v8, v8, v23
	v_mul_f32_e32 v23, 0xbf29c268, v19
	v_mul_f32_e32 v19, 0xbe750f2a, v19
	v_fmamk_f32 v55, v12, 0xbf3f9e67, v24
	v_fma_f32 v24, 0xbf3f9e67, v12, -v24
	v_fmamk_f32 v60, v12, 0xbf788fa5, v11
	v_fma_f32 v11, 0xbf788fa5, v12, -v11
	v_fma_f32 v52, 0x3df6dbef, v17, -v37
	v_fmac_f32_e32 v37, 0x3df6dbef, v17
	v_fma_f32 v54, 0xbeb58ec6, v17, -v46
	v_fmac_f32_e32 v46, 0xbeb58ec6, v17
	v_add_f32_e32 v48, v15, v48
	v_add_f32_e32 v49, v16, v49
	v_add_f32_e32 v30, v16, v30
	v_add_f32_e32 v51, v16, v51
	v_add_f32_e32 v36, v16, v36
	v_add_f32_e32 v53, v16, v53
	v_add_f32_e32 v45, v16, v45
	v_fma_f32 v21, 0xbf3f9e67, v17, -v23
	v_add_f32_e32 v47, v16, v47
	v_fmac_f32_e32 v23, 0xbf3f9e67, v17
	v_add_f32_e32 v55, v16, v55
	v_fma_f32 v58, 0xbf788fa5, v17, -v19
	v_add_f32_e32 v24, v16, v24
	v_fmac_f32_e32 v19, 0xbf788fa5, v17
	v_fma_f32 v12, 0x3f116cb1, v56, -v59
	v_add_f32_e32 v17, v16, v60
	v_mul_f32_e32 v60, 0xbf52af12, v13
	v_add_f32_e32 v11, v16, v11
	v_mul_f32_e32 v16, 0xbf6f5d39, v14
	v_add_f32_e32 v29, v15, v29
	v_add_f32_e32 v50, v15, v50
	;; [unrolled: 1-line block ×12, first 2 shown]
	v_fmamk_f32 v19, v57, 0x3f116cb1, v60
	v_fmac_f32_e32 v59, 0x3f116cb1, v56
	v_fma_f32 v48, 0x3f116cb1, v57, -v60
	v_mul_f32_e32 v60, 0xbf6f5d39, v13
	v_fma_f32 v61, 0xbeb58ec6, v56, -v16
	v_add_f32_e32 v19, v19, v49
	v_add_f32_e32 v29, v59, v29
	;; [unrolled: 1-line block ×3, first 2 shown]
	v_fmamk_f32 v48, v57, 0xbeb58ec6, v60
	v_add_f32_e32 v49, v61, v50
	v_mul_f32_e32 v50, 0xbe750f2a, v14
	v_fmac_f32_e32 v16, 0xbeb58ec6, v56
	v_fma_f32 v59, 0xbeb58ec6, v57, -v60
	v_add_f32_e32 v48, v48, v51
	v_mul_f32_e32 v51, 0xbe750f2a, v13
	v_fma_f32 v60, 0xbf788fa5, v56, -v50
	v_add_f32_e32 v16, v16, v31
	v_add_f32_e32 v31, v59, v36
	v_mul_f32_e32 v36, 0x3f29c268, v14
	v_fmamk_f32 v59, v57, 0xbf788fa5, v51
	v_add_f32_e32 v52, v60, v52
	v_fmac_f32_e32 v50, 0xbf788fa5, v56
	v_fma_f32 v51, 0xbf788fa5, v57, -v51
	v_fma_f32 v60, 0xbf3f9e67, v56, -v36
	v_add_f32_e32 v53, v59, v53
	v_mul_f32_e32 v59, 0x3f29c268, v13
	v_add_f32_e32 v37, v50, v37
	v_add_f32_e32 v45, v51, v45
	v_add_f32_e32 v50, v60, v54
	v_mul_f32_e32 v51, 0x3f7e222b, v14
	v_fmac_f32_e32 v36, 0xbf3f9e67, v56
	v_mul_f32_e32 v60, 0x3f7e222b, v13
	v_fmamk_f32 v54, v57, 0xbf3f9e67, v59
	v_mul_f32_e32 v14, 0x3eedf032, v14
	v_fma_f32 v61, 0x3df6dbef, v56, -v51
	v_add_f32_e32 v36, v36, v46
	v_fmamk_f32 v46, v57, 0x3df6dbef, v60
	v_fmac_f32_e32 v51, 0x3df6dbef, v56
	v_add_f32_e32 v22, v54, v22
	v_fma_f32 v54, 0x3df6dbef, v57, -v60
	v_fma_f32 v59, 0xbf3f9e67, v57, -v59
	v_add_f32_e32 v46, v46, v55
	v_fma_f32 v55, 0x3f62ad3f, v56, -v14
	v_add_f32_e32 v23, v51, v23
	v_sub_f32_e32 v51, v26, v44
	v_mul_f32_e32 v13, 0x3eedf032, v13
	v_add_f32_e32 v24, v54, v24
	v_add_f32_e32 v54, v55, v58
	;; [unrolled: 1-line block ×3, first 2 shown]
	v_mul_f32_e32 v58, 0xbf7e222b, v51
	v_sub_f32_e32 v25, v25, v43
	v_add_f32_e32 v47, v59, v47
	v_fmamk_f32 v59, v57, 0x3f62ad3f, v13
	v_fmac_f32_e32 v14, 0x3f62ad3f, v56
	v_fma_f32 v13, 0x3f62ad3f, v57, -v13
	v_fma_f32 v43, 0x3df6dbef, v55, -v58
	v_add_f32_e32 v26, v44, v26
	v_mul_f32_e32 v44, 0xbf7e222b, v25
	v_add_f32_e32 v14, v14, v15
	v_add_f32_e32 v11, v13, v11
	v_add_f32_e32 v12, v43, v12
	v_mul_f32_e32 v13, 0xbe750f2a, v51
	v_fmamk_f32 v15, v26, 0x3df6dbef, v44
	v_fmac_f32_e32 v58, 0x3df6dbef, v55
	v_fma_f32 v43, 0x3df6dbef, v26, -v44
	v_mul_f32_e32 v44, 0xbe750f2a, v25
	v_fma_f32 v56, 0xbf788fa5, v55, -v13
	v_add_f32_e32 v15, v15, v19
	v_add_f32_e32 v19, v58, v29
	;; [unrolled: 1-line block ×3, first 2 shown]
	v_fmamk_f32 v30, v26, 0xbf788fa5, v44
	v_add_f32_e32 v43, v56, v49
	v_mul_f32_e32 v49, 0x3f6f5d39, v51
	v_fmac_f32_e32 v13, 0xbf788fa5, v55
	v_fma_f32 v44, 0xbf788fa5, v26, -v44
	v_add_f32_e32 v30, v30, v48
	v_mul_f32_e32 v48, 0x3f6f5d39, v25
	v_fma_f32 v56, 0xbeb58ec6, v55, -v49
	v_add_f32_e32 v13, v13, v16
	v_add_f32_e32 v16, v44, v31
	v_mul_f32_e32 v31, 0x3eedf032, v51
	v_fmamk_f32 v44, v26, 0xbeb58ec6, v48
	v_add_f32_e32 v52, v56, v52
	v_fmac_f32_e32 v49, 0xbeb58ec6, v55
	v_fma_f32 v48, 0xbeb58ec6, v26, -v48
	v_fma_f32 v56, 0x3f62ad3f, v55, -v31
	v_add_f32_e32 v44, v44, v53
	v_mul_f32_e32 v53, 0x3eedf032, v25
	v_add_f32_e32 v37, v49, v37
	v_add_f32_e32 v45, v48, v45
	v_add_f32_e32 v48, v56, v50
	v_mul_f32_e32 v49, 0xbf52af12, v51
	v_fmamk_f32 v50, v26, 0x3f62ad3f, v53
	v_fmac_f32_e32 v31, 0x3f62ad3f, v55
	v_mul_f32_e32 v56, 0xbf52af12, v25
	v_fma_f32 v53, 0x3f62ad3f, v26, -v53
	v_fma_f32 v57, 0x3f116cb1, v55, -v49
	v_add_f32_e32 v22, v50, v22
	v_add_f32_e32 v31, v31, v36
	v_fmamk_f32 v36, v26, 0x3f116cb1, v56
	v_mul_f32_e32 v50, 0xbf29c268, v51
	v_fmac_f32_e32 v49, 0x3f116cb1, v55
	v_mul_f32_e32 v25, 0xbf29c268, v25
	v_add_f32_e32 v47, v53, v47
	v_add_f32_e32 v36, v36, v46
	v_fma_f32 v46, 0x3f116cb1, v26, -v56
	v_fma_f32 v51, 0xbf3f9e67, v55, -v50
	v_add_f32_e32 v23, v49, v23
	v_sub_f32_e32 v49, v28, v42
	v_fmamk_f32 v53, v26, 0xbf3f9e67, v25
	v_add_f32_e32 v24, v46, v24
	v_add_f32_e32 v46, v51, v54
	;; [unrolled: 1-line block ×3, first 2 shown]
	v_mul_f32_e32 v54, 0xbf6f5d39, v49
	v_sub_f32_e32 v27, v27, v41
	v_fma_f32 v25, 0xbf3f9e67, v26, -v25
	v_add_f32_e32 v28, v42, v28
	v_fmac_f32_e32 v50, 0xbf3f9e67, v55
	v_fma_f32 v26, 0xbeb58ec6, v51, -v54
	v_mul_f32_e32 v41, 0xbf6f5d39, v27
	v_add_f32_e32 v11, v25, v11
	v_mul_f32_e32 v25, 0x3f29c268, v49
	v_mul_f32_e32 v42, 0x3f29c268, v27
	v_add_f32_e32 v12, v26, v12
	v_fmamk_f32 v26, v28, 0xbeb58ec6, v41
	v_fma_f32 v41, 0xbeb58ec6, v28, -v41
	v_add_f32_e32 v14, v50, v14
	v_fma_f32 v50, 0xbf3f9e67, v51, -v25
	v_fmac_f32_e32 v25, 0xbf3f9e67, v51
	v_add_f32_e32 v15, v26, v15
	v_add_f32_e32 v26, v41, v29
	v_fmamk_f32 v29, v28, 0xbf3f9e67, v42
	v_add_f32_e32 v41, v50, v43
	v_mul_f32_e32 v43, 0x3eedf032, v49
	v_fma_f32 v42, 0xbf3f9e67, v28, -v42
	v_add_f32_e32 v13, v25, v13
	v_add_f32_e32 v29, v29, v30
	v_mul_f32_e32 v30, 0x3eedf032, v27
	v_fma_f32 v50, 0x3f62ad3f, v51, -v43
	v_add_f32_e32 v16, v42, v16
	v_mul_f32_e32 v25, 0xbf7e222b, v49
	v_fmac_f32_e32 v43, 0x3f62ad3f, v51
	v_fmamk_f32 v42, v28, 0x3f62ad3f, v30
	v_add_f32_e32 v50, v50, v52
	v_fma_f32 v30, 0x3f62ad3f, v28, -v30
	v_fma_f32 v52, 0x3df6dbef, v51, -v25
	v_add_f32_e32 v17, v59, v17
	v_add_f32_e32 v42, v42, v44
	v_mul_f32_e32 v44, 0xbf7e222b, v27
	v_add_f32_e32 v37, v43, v37
	v_add_f32_e32 v30, v30, v45
	;; [unrolled: 1-line block ×3, first 2 shown]
	v_mul_f32_e32 v45, 0x3e750f2a, v49
	v_fmamk_f32 v48, v28, 0x3df6dbef, v44
	v_fmac_f32_e32 v25, 0x3df6dbef, v51
	v_mul_f32_e32 v52, 0x3e750f2a, v27
	v_fma_f32 v44, 0x3df6dbef, v28, -v44
	v_add_f32_e32 v17, v53, v17
	v_fma_f32 v53, 0xbf788fa5, v51, -v45
	v_add_f32_e32 v25, v25, v31
	v_fmamk_f32 v31, v28, 0xbf788fa5, v52
	v_add_f32_e32 v44, v44, v47
	v_mul_f32_e32 v47, 0x3f52af12, v49
	v_fmac_f32_e32 v45, 0xbf788fa5, v51
	v_add_f32_e32 v22, v48, v22
	v_add_f32_e32 v31, v31, v36
	v_fma_f32 v36, 0xbf788fa5, v28, -v52
	v_fma_f32 v48, 0x3f116cb1, v51, -v47
	v_add_f32_e32 v23, v45, v23
	v_sub_f32_e32 v45, v1, v7
	v_mul_f32_e32 v27, 0x3f52af12, v27
	v_add_f32_e32 v24, v36, v24
	v_add_f32_e32 v36, v48, v46
	;; [unrolled: 1-line block ×3, first 2 shown]
	v_mul_f32_e32 v48, 0xbf29c268, v45
	v_sub_f32_e32 v0, v0, v6
	v_fmamk_f32 v49, v28, 0x3f116cb1, v27
	v_fma_f32 v6, 0x3f116cb1, v28, -v27
	v_add_f32_e32 v1, v7, v1
	v_fma_f32 v27, 0xbf3f9e67, v46, -v48
	v_mul_f32_e32 v7, 0xbf29c268, v0
	v_fmac_f32_e32 v47, 0x3f116cb1, v51
	v_add_f32_e32 v6, v6, v11
	v_mul_f32_e32 v28, 0x3f7e222b, v0
	v_add_f32_e32 v11, v27, v12
	v_mul_f32_e32 v12, 0x3f7e222b, v45
	v_fmamk_f32 v27, v1, 0xbf3f9e67, v7
	v_fma_f32 v7, 0xbf3f9e67, v1, -v7
	v_add_f32_e32 v14, v47, v14
	v_fmac_f32_e32 v54, 0xbeb58ec6, v51
	v_fma_f32 v47, 0x3df6dbef, v46, -v12
	v_add_f32_e32 v15, v27, v15
	v_add_f32_e32 v7, v7, v26
	v_fmamk_f32 v26, v1, 0x3df6dbef, v28
	v_fmac_f32_e32 v12, 0x3df6dbef, v46
	v_add_f32_e32 v27, v47, v41
	v_mul_f32_e32 v41, 0xbf52af12, v45
	v_fma_f32 v28, 0x3df6dbef, v1, -v28
	v_add_f32_e32 v26, v26, v29
	v_mul_f32_e32 v29, 0xbf52af12, v0
	v_add_f32_e32 v21, v61, v21
	v_add_f32_e32 v19, v54, v19
	v_fmac_f32_e32 v48, 0xbf3f9e67, v46
	v_fma_f32 v47, 0x3f116cb1, v46, -v41
	v_add_f32_e32 v12, v12, v13
	v_add_f32_e32 v13, v28, v16
	v_mul_f32_e32 v16, 0x3e750f2a, v45
	v_fmamk_f32 v28, v1, 0x3f116cb1, v29
	v_fmac_f32_e32 v41, 0x3f116cb1, v46
	v_add_f32_e32 v21, v57, v21
	v_add_f32_e32 v19, v48, v19
	v_fma_f32 v29, 0x3f116cb1, v1, -v29
	v_fma_f32 v48, 0xbf788fa5, v46, -v16
	v_add_f32_e32 v28, v28, v42
	v_mul_f32_e32 v42, 0x3e750f2a, v0
	v_add_f32_e32 v37, v41, v37
	v_mul_f32_e32 v41, 0x3eedf032, v45
	v_add_f32_e32 v21, v53, v21
	v_add_f32_e32 v17, v49, v17
	v_add_f32_e32 v29, v29, v30
	v_add_f32_e32 v30, v48, v43
	v_fmamk_f32 v43, v1, 0xbf788fa5, v42
	v_fmac_f32_e32 v16, 0xbf788fa5, v46
	v_mul_f32_e32 v48, 0x3eedf032, v0
	v_fma_f32 v49, 0x3f62ad3f, v46, -v41
	v_fma_f32 v42, 0xbf788fa5, v1, -v42
	v_add_f32_e32 v22, v43, v22
	v_add_f32_e32 v25, v16, v25
	v_fmamk_f32 v16, v1, 0x3f62ad3f, v48
	v_add_f32_e32 v43, v49, v21
	v_mul_f32_e32 v21, 0xbf6f5d39, v45
	v_add_f32_e32 v42, v42, v44
	v_sub_f32_e32 v45, v3, v5
	v_add_f32_e32 v31, v16, v31
	v_fma_f32 v16, 0x3f62ad3f, v1, -v48
	v_fma_f32 v44, 0xbeb58ec6, v46, -v21
	v_fmac_f32_e32 v41, 0x3f62ad3f, v46
	v_mul_f32_e32 v0, 0xbf6f5d39, v0
	v_fmac_f32_e32 v21, 0xbeb58ec6, v46
	v_add_f32_e32 v48, v16, v24
	v_add_f32_e32 v36, v44, v36
	v_add_f32_e32 v44, v4, v2
	v_mul_f32_e32 v16, 0xbe750f2a, v45
	v_sub_f32_e32 v24, v2, v4
	v_add_f32_e32 v41, v41, v23
	v_fmamk_f32 v23, v1, 0xbeb58ec6, v0
	v_fma_f32 v0, 0xbeb58ec6, v1, -v0
	v_fma_f32 v1, 0xbf788fa5, v44, -v16
	v_add_f32_e32 v46, v5, v3
	v_mul_f32_e32 v2, 0xbe750f2a, v24
	v_add_f32_e32 v47, v47, v50
	v_add_f32_e32 v50, v0, v6
	;; [unrolled: 1-line block ×3, first 2 shown]
	v_mul_f32_e32 v4, 0x3eedf032, v45
	v_fmamk_f32 v1, v46, 0xbf788fa5, v2
	v_fmac_f32_e32 v16, 0xbf788fa5, v44
	v_mul_f32_e32 v3, 0x3eedf032, v24
	v_add_f32_e32 v49, v21, v14
	v_fma_f32 v2, 0xbf788fa5, v46, -v2
	v_fma_f32 v5, 0x3f62ad3f, v44, -v4
	v_add_f32_e32 v1, v1, v15
	v_add_f32_e32 v6, v16, v19
	v_fmamk_f32 v11, v46, 0x3f62ad3f, v3
	v_mul_f32_e32 v14, 0xbf29c268, v45
	v_fmac_f32_e32 v4, 0x3f62ad3f, v44
	v_mul_f32_e32 v15, 0xbf29c268, v24
	v_mul_f32_e32 v19, 0x3f52af12, v45
	v_add_f32_e32 v7, v2, v7
	v_add_f32_e32 v2, v5, v27
	v_fma_f32 v5, 0x3f62ad3f, v46, -v3
	v_add_f32_e32 v3, v11, v26
	v_fma_f32 v11, 0xbf3f9e67, v44, -v14
	v_add_f32_e32 v4, v4, v12
	v_fmamk_f32 v12, v46, 0xbf3f9e67, v15
	v_fmac_f32_e32 v14, 0xbf3f9e67, v44
	v_fma_f32 v15, 0xbf3f9e67, v46, -v15
	v_fma_f32 v16, 0x3f116cb1, v44, -v19
	v_mul_f32_e32 v21, 0x3f52af12, v24
	v_mul_f32_e32 v26, 0xbf6f5d39, v45
	v_fmac_f32_e32 v19, 0x3f116cb1, v44
	v_mul_f32_e32 v27, 0xbf6f5d39, v24
	v_add_f32_e32 v17, v23, v17
	v_add_f32_e32 v5, v5, v13
	;; [unrolled: 1-line block ×6, first 2 shown]
	v_fmamk_f32 v16, v46, 0x3f116cb1, v21
	v_fma_f32 v23, 0x3f116cb1, v46, -v21
	v_fma_f32 v28, 0xbeb58ec6, v44, -v26
	v_add_f32_e32 v21, v19, v25
	v_fmamk_f32 v19, v46, 0xbeb58ec6, v27
	v_add_f32_e32 v16, v16, v22
	v_add_f32_e32 v22, v23, v42
	;; [unrolled: 1-line block ×3, first 2 shown]
	v_mul_f32_e32 v28, 0x3f7e222b, v24
	v_fmac_f32_e32 v26, 0xbeb58ec6, v44
	v_mul_f32_e32 v29, 0x3f7e222b, v45
	v_add_f32_e32 v24, v19, v31
	v_fma_f32 v19, 0xbeb58ec6, v46, -v27
	v_fmamk_f32 v30, v46, 0x3df6dbef, v28
	v_add_f32_e32 v25, v26, v41
	v_fma_f32 v27, 0x3df6dbef, v44, -v29
	v_fmac_f32_e32 v29, 0x3df6dbef, v44
	v_add_f32_e32 v26, v19, v48
	v_fma_f32 v19, 0x3df6dbef, v46, -v28
	v_add_f32_e32 v28, v30, v17
	v_mad_u32_u24 v17, 0x60, v32, v33
	v_add_f32_e32 v11, v11, v47
	v_add_f32_e32 v27, v27, v36
	v_add_f32_e32 v29, v29, v49
	v_add_f32_e32 v30, v19, v50
	ds_write2_b64 v17, v[8:9], v[0:1] offset1:1
	ds_write2_b64 v17, v[2:3], v[11:12] offset0:2 offset1:3
	ds_write2_b64 v17, v[15:16], v[23:24] offset0:4 offset1:5
	;; [unrolled: 1-line block ×5, first 2 shown]
	ds_write_b64 v17, v[6:7] offset:96
	s_waitcnt lgkmcnt(0)
	s_barrier
	buffer_gl0_inv
	ds_read2_b64 v[14:17], v33 offset0:160 offset1:208
	ds_read2_b64 v[22:25], v33 offset0:32 offset1:64
	;; [unrolled: 1-line block ×5, first 2 shown]
	ds_read_b64 v[4:5], v39
	ds_read_b64 v[18:19], v33 offset:2944
	s_and_saveexec_b32 s1, s0
	s_cbranch_execz .LBB0_21
; %bb.20:
	v_add_nc_u32_e32 v6, 0x600, v33
	ds_read2_b64 v[6:9], v6 offset1:208
.LBB0_21:
	s_or_b32 exec_lo, exec_lo, s1
	v_or_b32_e32 v21, 32, v32
	v_mul_lo_u16 v26, v32, 20
	v_or_b32_e32 v27, 64, v32
	v_or_b32_e32 v36, 0x60, v32
	;; [unrolled: 1-line block ×3, first 2 shown]
	v_mul_lo_u16 v37, v21, 20
	v_lshrrev_b16 v51, 8, v26
	v_mul_lo_u16 v26, 0x4f, v27
	v_or_b32_e32 v44, 0xa0, v32
	v_mov_b32_e32 v42, 3
	v_lshrrev_b16 v52, 8, v37
	v_mul_lo_u16 v37, 0x4f, v36
	v_lshrrev_b16 v53, 10, v26
	v_mul_lo_u16 v41, 0x4f, v43
	v_mul_lo_u16 v45, 0x4f, v44
	;; [unrolled: 1-line block ×3, first 2 shown]
	v_lshrrev_b16 v54, 10, v37
	v_mul_lo_u16 v37, v53, 13
	v_mul_lo_u16 v46, v51, 13
	v_lshrrev_b16 v55, 10, v41
	v_sub_nc_u16 v21, v21, v47
	v_mul_lo_u16 v41, v54, 13
	v_lshrrev_b16 v56, 10, v45
	v_sub_nc_u16 v26, v32, v46
	v_mul_lo_u16 v45, v55, 13
	v_lshlrev_b32_sdwa v58, v42, v21 dst_sel:DWORD dst_unused:UNUSED_PAD src0_sel:DWORD src1_sel:BYTE_0
	v_sub_nc_u16 v21, v27, v37
	v_mul_lo_u16 v37, 0x4f, v20
	v_sub_nc_u16 v36, v36, v41
	v_lshlrev_b32_sdwa v57, v42, v26 dst_sel:DWORD dst_unused:UNUSED_PAD src0_sel:DWORD src1_sel:BYTE_0
	v_mul_lo_u16 v46, v56, 13
	v_lshlrev_b32_sdwa v59, v42, v21 dst_sel:DWORD dst_unused:UNUSED_PAD src0_sel:DWORD src1_sel:BYTE_0
	v_lshrrev_b16 v41, 10, v37
	v_sub_nc_u16 v21, v43, v45
	global_load_dwordx2 v[26:27], v57, s[8:9]
	v_sub_nc_u16 v47, v44, v46
	v_lshlrev_b32_sdwa v60, v42, v36 dst_sel:DWORD dst_unused:UNUSED_PAD src0_sel:DWORD src1_sel:BYTE_0
	global_load_dwordx2 v[36:37], v58, s[8:9]
	v_mul_lo_u16 v48, v41, 13
	v_lshlrev_b32_sdwa v61, v42, v21 dst_sel:DWORD dst_unused:UNUSED_PAD src0_sel:DWORD src1_sel:BYTE_0
	v_lshlrev_b32_sdwa v62, v42, v47 dst_sel:DWORD dst_unused:UNUSED_PAD src0_sel:DWORD src1_sel:BYTE_0
	s_clause 0x1
	global_load_dwordx2 v[43:44], v59, s[8:9]
	global_load_dwordx2 v[45:46], v60, s[8:9]
	v_and_b32_e32 v51, 0xffff, v51
	v_sub_nc_u16 v48, v20, v48
	global_load_dwordx2 v[20:21], v61, s[8:9]
	v_and_b32_e32 v52, 0xffff, v52
	v_and_b32_e32 v53, 0xffff, v53
	v_mad_u32_u24 v51, 0xd0, v51, 0
	v_lshlrev_b32_sdwa v42, v42, v48 dst_sel:DWORD dst_unused:UNUSED_PAD src0_sel:DWORD src1_sel:BYTE_0
	s_clause 0x1
	global_load_dwordx2 v[47:48], v62, s[8:9]
	global_load_dwordx2 v[49:50], v42, s[8:9]
	v_add3_u32 v51, v51, v57, v40
	v_mad_u32_u24 v52, 0xd0, v52, 0
	v_and_b32_e32 v54, 0xffff, v54
	v_and_b32_e32 v55, 0xffff, v55
	;; [unrolled: 1-line block ×3, first 2 shown]
	v_mad_u32_u24 v53, 0xd0, v53, 0
	v_add3_u32 v52, v52, v58, v40
	v_mad_u32_u24 v54, 0xd0, v54, 0
	v_mad_u32_u24 v55, 0xd0, v55, 0
	;; [unrolled: 1-line block ×3, first 2 shown]
	v_add3_u32 v53, v53, v59, v40
	s_waitcnt vmcnt(0) lgkmcnt(0)
	v_add3_u32 v54, v54, v60, v40
	v_add3_u32 v55, v55, v61, v40
	s_barrier
	buffer_gl0_inv
	v_add3_u32 v56, v56, v62, v40
	v_mul_f32_e32 v57, v27, v17
	v_mul_f32_e32 v27, v27, v16
	v_fma_f32 v16, v26, v16, -v57
	v_fmac_f32_e32 v27, v26, v17
	v_mul_f32_e32 v17, v37, v11
	v_mul_f32_e32 v26, v37, v10
	;; [unrolled: 1-line block ×7, first 2 shown]
	v_fma_f32 v10, v36, v10, -v17
	v_fmac_f32_e32 v26, v36, v11
	v_mul_f32_e32 v11, v21, v2
	v_mul_f32_e32 v17, v48, v19
	v_fma_f32 v12, v43, v12, -v37
	v_fmac_f32_e32 v44, v43, v13
	v_mul_f32_e32 v43, v48, v18
	v_mul_f32_e32 v13, v9, v50
	;; [unrolled: 1-line block ×3, first 2 shown]
	v_fma_f32 v50, v45, v0, -v57
	v_fmac_f32_e32 v46, v45, v1
	v_fma_f32 v2, v20, v2, -v58
	v_fmac_f32_e32 v11, v20, v3
	v_fma_f32 v3, v47, v18, -v17
	v_sub_f32_e32 v16, v4, v16
	v_sub_f32_e32 v17, v5, v27
	v_fmac_f32_e32 v43, v47, v19
	v_fma_f32 v18, v8, v49, -v13
	v_fmac_f32_e32 v48, v9, v49
	v_fma_f32 v36, v4, 2.0, -v16
	v_fma_f32 v37, v5, 2.0, -v17
	v_sub_f32_e32 v0, v22, v10
	v_sub_f32_e32 v1, v23, v26
	;; [unrolled: 1-line block ×12, first 2 shown]
	v_fma_f32 v18, v22, 2.0, -v0
	v_fma_f32 v19, v23, 2.0, -v1
	;; [unrolled: 1-line block ×12, first 2 shown]
	ds_write2_b64 v51, v[36:37], v[16:17] offset1:13
	ds_write2_b64 v52, v[18:19], v[0:1] offset1:13
	;; [unrolled: 1-line block ×6, first 2 shown]
	s_and_saveexec_b32 s1, s0
	s_cbranch_execz .LBB0_23
; %bb.22:
	v_and_b32_e32 v24, 0xffff, v41
	v_mad_u32_u24 v24, 0xd0, v24, 0
	v_add3_u32 v24, v24, v42, v40
	ds_write2_b64 v24, v[6:7], v[26:27] offset1:13
.LBB0_23:
	s_or_b32 exec_lo, exec_lo, s1
	v_cmp_gt_u32_e64 s0, 26, v32
	s_waitcnt lgkmcnt(0)
	s_barrier
	buffer_gl0_inv
                                        ; implicit-def: $vgpr25
	s_and_saveexec_b32 s1, s0
	s_cbranch_execz .LBB0_25
; %bb.24:
	v_add_nc_u32_e32 v4, 0x400, v33
	v_add_nc_u32_e32 v24, 0x800, v33
	ds_read2_b64 v[16:19], v33 offset0:26 offset1:52
	ds_read2_b64 v[0:3], v33 offset0:78 offset1:104
	ds_read2_b64 v[20:23], v33 offset0:130 offset1:156
	ds_read2_b64 v[8:11], v33 offset0:182 offset1:208
	ds_read2_b64 v[12:15], v4 offset0:106 offset1:132
	ds_read2_b64 v[4:7], v24 offset0:30 offset1:56
	ds_read2_b64 v[26:29], v24 offset0:82 offset1:108
	ds_read_b64 v[36:37], v39
	ds_read_b64 v[24:25], v33 offset:3120
.LBB0_25:
	s_or_b32 exec_lo, exec_lo, s1
	s_waitcnt lgkmcnt(0)
	s_barrier
	buffer_gl0_inv
	s_and_saveexec_b32 s1, s0
	s_cbranch_execz .LBB0_27
; %bb.26:
	v_subrev_nc_u32_e32 v30, 26, v32
	v_mov_b32_e32 v31, 0
	v_cndmask_b32_e64 v30, v30, v32, s0
	v_mul_i32_i24_e32 v30, 15, v30
	v_lshlrev_b64 v[30:31], 3, v[30:31]
	v_add_co_u32 v30, s0, s8, v30
	v_add_co_ci_u32_e64 v31, s0, s9, v31, s0
	s_clause 0x4
	global_load_dwordx4 v[40:43], v[30:31], off offset:136
	global_load_dwordx4 v[44:47], v[30:31], off offset:200
	;; [unrolled: 1-line block ×4, first 2 shown]
	global_load_dwordx2 v[56:57], v[30:31], off offset:216
	s_waitcnt vmcnt(4)
	v_mul_f32_e32 v58, v22, v43
	v_mul_f32_e32 v43, v23, v43
	;; [unrolled: 1-line block ×4, first 2 shown]
	v_fmac_f32_e32 v58, v23, v42
	v_fma_f32 v42, v22, v42, -v43
	v_fmac_f32_e32 v59, v21, v40
	v_fma_f32 v40, v20, v40, -v41
	s_waitcnt vmcnt(3)
	v_mul_f32_e32 v41, v28, v47
	v_mul_f32_e32 v43, v29, v47
	;; [unrolled: 1-line block ×4, first 2 shown]
	global_load_dwordx4 v[20:23], v[30:31], off offset:120
	v_fmac_f32_e32 v41, v29, v46
	v_fma_f32 v43, v28, v46, -v43
	v_fmac_f32_e32 v47, v27, v44
	v_fma_f32 v44, v26, v44, -v45
	global_load_dwordx4 v[26:29], v[30:31], off offset:168
	s_waitcnt vmcnt(4)
	v_mul_f32_e32 v45, v19, v51
	v_mul_f32_e32 v46, v18, v51
	;; [unrolled: 1-line block ×4, first 2 shown]
	v_fma_f32 v45, v18, v50, -v45
	v_fmac_f32_e32 v46, v19, v50
	v_fma_f32 v50, v16, v48, -v51
	v_fmac_f32_e32 v49, v17, v48
	global_load_dwordx4 v[16:19], v[30:31], off offset:184
	v_add_nc_u32_e32 v51, 0x800, v33
	v_add_nc_u32_e32 v30, 0x400, v33
	s_waitcnt vmcnt(1)
	v_mul_f32_e32 v31, v15, v29
	v_mul_f32_e32 v48, v13, v27
	v_mul_f32_e32 v27, v12, v27
	v_mul_f32_e32 v29, v14, v29
	v_fma_f32 v14, v14, v28, -v31
	v_fma_f32 v12, v12, v26, -v48
	v_fmac_f32_e32 v27, v13, v26
	v_mul_f32_e32 v26, v10, v55
	v_mul_f32_e32 v31, v8, v53
	v_mul_f32_e32 v48, v9, v53
	v_mul_f32_e32 v53, v11, v55
	v_fmac_f32_e32 v29, v15, v28
	v_mul_f32_e32 v13, v3, v23
	s_waitcnt vmcnt(0)
	v_mul_f32_e32 v15, v7, v19
	v_mul_f32_e32 v28, v1, v21
	;; [unrolled: 1-line block ×3, first 2 shown]
	v_fmac_f32_e32 v26, v11, v54
	v_fmac_f32_e32 v31, v9, v52
	v_fma_f32 v9, v10, v54, -v53
	v_mul_f32_e32 v10, v24, v57
	v_mul_f32_e32 v11, v25, v57
	v_mul_f32_e32 v21, v0, v21
	v_mul_f32_e32 v17, v4, v17
	v_mul_f32_e32 v23, v2, v23
	v_mul_f32_e32 v19, v6, v19
	v_fma_f32 v8, v8, v52, -v48
	v_fma_f32 v2, v2, v22, -v13
	;; [unrolled: 1-line block ×5, first 2 shown]
	v_fmac_f32_e32 v10, v25, v56
	v_fma_f32 v11, v24, v56, -v11
	v_fmac_f32_e32 v21, v1, v20
	v_fmac_f32_e32 v17, v5, v16
	v_fmac_f32_e32 v23, v3, v22
	v_fmac_f32_e32 v19, v7, v18
	v_sub_f32_e32 v1, v45, v14
	v_sub_f32_e32 v3, v58, v41
	;; [unrolled: 1-line block ×17, first 2 shown]
	v_add_f32_e32 v20, v7, v5
	v_add_f32_e32 v22, v13, v6
	v_sub_f32_e32 v24, v4, v10
	v_sub_f32_e32 v25, v12, v14
	v_add_f32_e32 v26, v15, v11
	v_add_f32_e32 v27, v17, v16
	v_sub_f32_e32 v28, v9, v18
	v_fma_f32 v29, v45, 2.0, -v1
	v_fma_f32 v5, v42, 2.0, -v5
	;; [unrolled: 1-line block ×16, first 2 shown]
	v_fmamk_f32 v36, v20, 0x3f3504f3, v22
	v_fmamk_f32 v40, v24, 0x3f3504f3, v25
	v_fmamk_f32 v41, v26, 0x3f3504f3, v27
	v_fmamk_f32 v42, v19, 0x3f3504f3, v28
	v_sub_f32_e32 v5, v29, v5
	v_sub_f32_e32 v18, v37, v18
	;; [unrolled: 1-line block ×4, first 2 shown]
	v_fma_f32 v44, v1, 2.0, -v19
	v_fma_f32 v13, v13, 2.0, -v22
	;; [unrolled: 1-line block ×8, first 2 shown]
	v_sub_f32_e32 v16, v23, v16
	v_sub_f32_e32 v10, v21, v10
	;; [unrolled: 1-line block ×4, first 2 shown]
	v_fmac_f32_e32 v36, 0x3f3504f3, v19
	v_fmac_f32_e32 v40, 0xbf3504f3, v26
	;; [unrolled: 1-line block ×4, first 2 shown]
	v_add_f32_e32 v19, v18, v5
	v_add_f32_e32 v20, v14, v8
	v_fmamk_f32 v26, v7, 0xbf3504f3, v13
	v_fmamk_f32 v46, v4, 0xbf3504f3, v12
	;; [unrolled: 1-line block ×4, first 2 shown]
	v_sub_f32_e32 v9, v16, v10
	v_sub_f32_e32 v24, v43, v2
	v_fma_f32 v37, v37, 2.0, -v18
	v_fma_f32 v6, v6, 2.0, -v2
	;; [unrolled: 1-line block ×8, first 2 shown]
	v_fmamk_f32 v1, v41, 0x3f6c835e, v36
	v_fmamk_f32 v0, v40, 0x3f6c835e, v42
	;; [unrolled: 1-line block ×3, first 2 shown]
	v_fmac_f32_e32 v26, 0x3f3504f3, v44
	v_fmac_f32_e32 v46, 0xbf3504f3, v15
	v_fmac_f32_e32 v47, 0x3f3504f3, v4
	v_fmac_f32_e32 v48, 0xbf3504f3, v7
	v_fma_f32 v50, v22, 2.0, -v36
	v_fma_f32 v22, v25, 2.0, -v40
	v_fma_f32 v25, v27, 2.0, -v41
	v_fma_f32 v27, v28, 2.0, -v42
	v_fma_f32 v28, v18, 2.0, -v19
	v_fma_f32 v52, v14, 2.0, -v20
	v_fmamk_f32 v2, v9, 0x3f3504f3, v24
	v_sub_f32_e32 v21, v37, v6
	v_sub_f32_e32 v15, v23, v8
	;; [unrolled: 1-line block ×4, first 2 shown]
	v_fma_f32 v18, v16, 2.0, -v9
	v_fma_f32 v43, v43, 2.0, -v24
	v_fmac_f32_e32 v1, 0x3ec3ef15, v40
	v_fmac_f32_e32 v0, 0xbec3ef15, v41
	;; [unrolled: 1-line block ×3, first 2 shown]
	v_fmamk_f32 v11, v52, 0xbf3504f3, v28
	v_fma_f32 v40, v13, 2.0, -v26
	v_fma_f32 v41, v12, 2.0, -v46
	;; [unrolled: 1-line block ×4, first 2 shown]
	v_fmac_f32_e32 v2, 0xbf3504f3, v20
	v_add_f32_e32 v7, v21, v15
	v_fmamk_f32 v8, v22, 0xbec3ef15, v27
	v_fma_f32 v37, v37, 2.0, -v21
	v_fma_f32 v20, v29, 2.0, -v49
	;; [unrolled: 1-line block ×4, first 2 shown]
	v_fmamk_f32 v9, v25, 0xbec3ef15, v50
	v_fmamk_f32 v5, v47, 0x3ec3ef15, v26
	v_fmamk_f32 v4, v46, 0x3ec3ef15, v48
	v_fmamk_f32 v10, v18, 0xbf3504f3, v43
	v_fma_f32 v15, v19, 2.0, -v3
	v_fmac_f32_e32 v11, 0x3f3504f3, v18
	v_fmamk_f32 v19, v53, 0xbf6c835e, v40
	v_fmamk_f32 v18, v41, 0xbf6c835e, v45
	v_fma_f32 v17, v21, 2.0, -v7
	v_fmac_f32_e32 v8, 0xbf6c835e, v25
	v_sub_f32_e32 v21, v37, v20
	v_sub_f32_e32 v20, v31, v23
	;; [unrolled: 1-line block ×3, first 2 shown]
	v_fmac_f32_e32 v9, 0x3f6c835e, v22
	v_fmac_f32_e32 v5, 0x3f6c835e, v46
	;; [unrolled: 1-line block ×3, first 2 shown]
	v_fma_f32 v13, v36, 2.0, -v1
	v_fma_f32 v12, v42, 2.0, -v0
	v_fmac_f32_e32 v10, 0xbf3504f3, v52
	v_fmac_f32_e32 v19, 0x3ec3ef15, v41
	;; [unrolled: 1-line block ×3, first 2 shown]
	v_fma_f32 v14, v24, 2.0, -v2
	v_fma_f32 v24, v27, 2.0, -v8
	v_fma_f32 v27, v28, 2.0, -v11
	v_fma_f32 v29, v37, 2.0, -v21
	v_fma_f32 v28, v31, 2.0, -v20
	v_fma_f32 v16, v44, 2.0, -v6
	v_fma_f32 v25, v50, 2.0, -v9
	v_fma_f32 v23, v26, 2.0, -v5
	v_fma_f32 v22, v48, 2.0, -v4
	v_fma_f32 v26, v43, 2.0, -v10
	ds_write2_b64 v33, v[12:13], v[20:21] offset0:182 offset1:208
	ds_write2_b64 v51, v[8:9], v[6:7] offset0:30 offset1:56
	;; [unrolled: 1-line block ×3, first 2 shown]
	v_fma_f32 v3, v40, 2.0, -v19
	v_fma_f32 v2, v45, 2.0, -v18
	ds_write_b64 v39, v[28:29]
	ds_write2_b64 v33, v[24:25], v[16:17] offset0:78 offset1:104
	ds_write2_b64 v33, v[22:23], v[14:15] offset0:130 offset1:156
	;; [unrolled: 1-line block ×4, first 2 shown]
	ds_write_b64 v33, v[0:1] offset:3120
.LBB0_27:
	s_or_b32 exec_lo, exec_lo, s1
	s_waitcnt lgkmcnt(0)
	s_barrier
	buffer_gl0_inv
	s_and_saveexec_b32 s0, vcc_lo
	s_cbranch_execz .LBB0_29
; %bb.28:
	v_mov_b32_e32 v33, 0
	v_lshl_add_u32 v22, v32, 3, v38
	v_add_nc_u32_e32 v4, 32, v32
	v_add_co_u32 v23, vcc_lo, s2, v34
	v_mov_b32_e32 v5, v33
	v_lshlrev_b64 v[8:9], 3, v[32:33]
	v_add_co_ci_u32_e32 v24, vcc_lo, s3, v35, vcc_lo
	ds_read2_b64 v[0:3], v22 offset1:32
	v_add_nc_u32_e32 v12, 64, v32
	v_mov_b32_e32 v13, v33
	v_lshlrev_b64 v[10:11], 3, v[4:5]
	ds_read2_b64 v[4:7], v22 offset0:64 offset1:96
	v_add_co_u32 v14, vcc_lo, v23, v8
	v_add_co_ci_u32_e32 v15, vcc_lo, v24, v9, vcc_lo
	v_lshlrev_b64 v[8:9], 3, v[12:13]
	v_add_co_u32 v12, vcc_lo, v23, v10
	v_add_co_ci_u32_e32 v13, vcc_lo, v24, v11, vcc_lo
	v_add_nc_u32_e32 v16, 0x60, v32
	v_add_co_u32 v18, vcc_lo, v23, v8
	v_mov_b32_e32 v17, v33
	v_add_co_ci_u32_e32 v19, vcc_lo, v24, v9, vcc_lo
	ds_read2_b64 v[8:11], v22 offset0:128 offset1:160
	v_add_nc_u32_e32 v20, 0x80, v32
	v_mov_b32_e32 v21, v33
	v_lshlrev_b64 v[16:17], 3, v[16:17]
	s_waitcnt lgkmcnt(2)
	global_store_dwordx2 v[14:15], v[0:1], off
	global_store_dwordx2 v[12:13], v[2:3], off
	s_waitcnt lgkmcnt(1)
	global_store_dwordx2 v[18:19], v[4:5], off
	v_add_nc_u32_e32 v4, 0xa0, v32
	v_mov_b32_e32 v5, v33
	v_lshlrev_b64 v[0:1], 3, v[20:21]
	v_add_nc_u32_e32 v12, 0xc0, v32
	v_add_co_u32 v2, vcc_lo, v23, v16
	v_add_co_ci_u32_e32 v3, vcc_lo, v24, v17, vcc_lo
	v_add_co_u32 v0, vcc_lo, v23, v0
	v_add_co_ci_u32_e32 v1, vcc_lo, v24, v1, vcc_lo
	global_store_dwordx2 v[2:3], v[6:7], off
	s_waitcnt lgkmcnt(0)
	global_store_dwordx2 v[0:1], v[8:9], off
	v_mov_b32_e32 v13, v33
	ds_read2_b64 v[0:3], v22 offset0:192 offset1:224
	v_lshlrev_b64 v[4:5], 3, v[4:5]
	v_add_nc_u32_e32 v8, 0xe0, v32
	v_mov_b32_e32 v9, v33
	v_lshlrev_b64 v[6:7], 3, v[12:13]
	v_add_nc_u32_e32 v12, 0x100, v32
	v_add_nc_u32_e32 v14, 0x800, v22
	v_add_co_u32 v4, vcc_lo, v23, v4
	v_lshlrev_b64 v[8:9], 3, v[8:9]
	v_add_co_ci_u32_e32 v5, vcc_lo, v24, v5, vcc_lo
	v_add_co_u32 v6, vcc_lo, v23, v6
	v_add_co_ci_u32_e32 v7, vcc_lo, v24, v7, vcc_lo
	v_add_co_u32 v8, vcc_lo, v23, v8
	v_add_co_ci_u32_e32 v9, vcc_lo, v24, v9, vcc_lo
	global_store_dwordx2 v[4:5], v[10:11], off
	s_waitcnt lgkmcnt(0)
	global_store_dwordx2 v[6:7], v[0:1], off
	global_store_dwordx2 v[8:9], v[2:3], off
	v_lshlrev_b64 v[4:5], 3, v[12:13]
	v_add_nc_u32_e32 v6, 0x120, v32
	v_mov_b32_e32 v7, v33
	ds_read2_b64 v[0:3], v14 offset1:32
	v_add_nc_u32_e32 v8, 0x140, v32
	v_mov_b32_e32 v9, v33
	v_add_co_u32 v10, vcc_lo, v23, v4
	v_add_co_ci_u32_e32 v11, vcc_lo, v24, v5, vcc_lo
	v_lshlrev_b64 v[12:13], 3, v[6:7]
	ds_read2_b64 v[4:7], v14 offset0:64 offset1:96
	v_add_nc_u32_e32 v14, 0x160, v32
	v_mov_b32_e32 v15, v33
	ds_read_b64 v[16:17], v22 offset:3072
	v_lshlrev_b64 v[8:9], 3, v[8:9]
	v_add_nc_u32_e32 v32, 0x180, v32
	v_add_co_u32 v12, vcc_lo, v23, v12
	v_lshlrev_b64 v[14:15], 3, v[14:15]
	v_add_co_ci_u32_e32 v13, vcc_lo, v24, v13, vcc_lo
	v_add_co_u32 v8, vcc_lo, v23, v8
	v_lshlrev_b64 v[18:19], 3, v[32:33]
	v_add_co_ci_u32_e32 v9, vcc_lo, v24, v9, vcc_lo
	v_add_co_u32 v14, vcc_lo, v23, v14
	v_add_co_ci_u32_e32 v15, vcc_lo, v24, v15, vcc_lo
	v_add_co_u32 v18, vcc_lo, v23, v18
	v_add_co_ci_u32_e32 v19, vcc_lo, v24, v19, vcc_lo
	s_waitcnt lgkmcnt(2)
	global_store_dwordx2 v[10:11], v[0:1], off
	global_store_dwordx2 v[12:13], v[2:3], off
	s_waitcnt lgkmcnt(1)
	global_store_dwordx2 v[8:9], v[4:5], off
	global_store_dwordx2 v[14:15], v[6:7], off
	s_waitcnt lgkmcnt(0)
	global_store_dwordx2 v[18:19], v[16:17], off
.LBB0_29:
	s_endpgm
	.section	.rodata,"a",@progbits
	.p2align	6, 0x0
	.amdhsa_kernel fft_rtc_fwd_len416_factors_13_2_16_wgs_64_tpt_32_sp_ip_CI_unitstride_sbrr_C2R_dirReg
		.amdhsa_group_segment_fixed_size 0
		.amdhsa_private_segment_fixed_size 0
		.amdhsa_kernarg_size 88
		.amdhsa_user_sgpr_count 6
		.amdhsa_user_sgpr_private_segment_buffer 1
		.amdhsa_user_sgpr_dispatch_ptr 0
		.amdhsa_user_sgpr_queue_ptr 0
		.amdhsa_user_sgpr_kernarg_segment_ptr 1
		.amdhsa_user_sgpr_dispatch_id 0
		.amdhsa_user_sgpr_flat_scratch_init 0
		.amdhsa_user_sgpr_private_segment_size 0
		.amdhsa_wavefront_size32 1
		.amdhsa_uses_dynamic_stack 0
		.amdhsa_system_sgpr_private_segment_wavefront_offset 0
		.amdhsa_system_sgpr_workgroup_id_x 1
		.amdhsa_system_sgpr_workgroup_id_y 0
		.amdhsa_system_sgpr_workgroup_id_z 0
		.amdhsa_system_sgpr_workgroup_info 0
		.amdhsa_system_vgpr_workitem_id 0
		.amdhsa_next_free_vgpr 63
		.amdhsa_next_free_sgpr 21
		.amdhsa_reserve_vcc 1
		.amdhsa_reserve_flat_scratch 0
		.amdhsa_float_round_mode_32 0
		.amdhsa_float_round_mode_16_64 0
		.amdhsa_float_denorm_mode_32 3
		.amdhsa_float_denorm_mode_16_64 3
		.amdhsa_dx10_clamp 1
		.amdhsa_ieee_mode 1
		.amdhsa_fp16_overflow 0
		.amdhsa_workgroup_processor_mode 1
		.amdhsa_memory_ordered 1
		.amdhsa_forward_progress 0
		.amdhsa_shared_vgpr_count 0
		.amdhsa_exception_fp_ieee_invalid_op 0
		.amdhsa_exception_fp_denorm_src 0
		.amdhsa_exception_fp_ieee_div_zero 0
		.amdhsa_exception_fp_ieee_overflow 0
		.amdhsa_exception_fp_ieee_underflow 0
		.amdhsa_exception_fp_ieee_inexact 0
		.amdhsa_exception_int_div_zero 0
	.end_amdhsa_kernel
	.text
.Lfunc_end0:
	.size	fft_rtc_fwd_len416_factors_13_2_16_wgs_64_tpt_32_sp_ip_CI_unitstride_sbrr_C2R_dirReg, .Lfunc_end0-fft_rtc_fwd_len416_factors_13_2_16_wgs_64_tpt_32_sp_ip_CI_unitstride_sbrr_C2R_dirReg
                                        ; -- End function
	.section	.AMDGPU.csdata,"",@progbits
; Kernel info:
; codeLenInByte = 8992
; NumSgprs: 23
; NumVgprs: 63
; ScratchSize: 0
; MemoryBound: 0
; FloatMode: 240
; IeeeMode: 1
; LDSByteSize: 0 bytes/workgroup (compile time only)
; SGPRBlocks: 2
; VGPRBlocks: 7
; NumSGPRsForWavesPerEU: 23
; NumVGPRsForWavesPerEU: 63
; Occupancy: 16
; WaveLimiterHint : 1
; COMPUTE_PGM_RSRC2:SCRATCH_EN: 0
; COMPUTE_PGM_RSRC2:USER_SGPR: 6
; COMPUTE_PGM_RSRC2:TRAP_HANDLER: 0
; COMPUTE_PGM_RSRC2:TGID_X_EN: 1
; COMPUTE_PGM_RSRC2:TGID_Y_EN: 0
; COMPUTE_PGM_RSRC2:TGID_Z_EN: 0
; COMPUTE_PGM_RSRC2:TIDIG_COMP_CNT: 0
	.text
	.p2alignl 6, 3214868480
	.fill 48, 4, 3214868480
	.type	__hip_cuid_866bc095ca8d4112,@object ; @__hip_cuid_866bc095ca8d4112
	.section	.bss,"aw",@nobits
	.globl	__hip_cuid_866bc095ca8d4112
__hip_cuid_866bc095ca8d4112:
	.byte	0                               ; 0x0
	.size	__hip_cuid_866bc095ca8d4112, 1

	.ident	"AMD clang version 19.0.0git (https://github.com/RadeonOpenCompute/llvm-project roc-6.4.0 25133 c7fe45cf4b819c5991fe208aaa96edf142730f1d)"
	.section	".note.GNU-stack","",@progbits
	.addrsig
	.addrsig_sym __hip_cuid_866bc095ca8d4112
	.amdgpu_metadata
---
amdhsa.kernels:
  - .args:
      - .actual_access:  read_only
        .address_space:  global
        .offset:         0
        .size:           8
        .value_kind:     global_buffer
      - .offset:         8
        .size:           8
        .value_kind:     by_value
      - .actual_access:  read_only
        .address_space:  global
        .offset:         16
        .size:           8
        .value_kind:     global_buffer
      - .actual_access:  read_only
        .address_space:  global
        .offset:         24
        .size:           8
        .value_kind:     global_buffer
      - .offset:         32
        .size:           8
        .value_kind:     by_value
      - .actual_access:  read_only
        .address_space:  global
        .offset:         40
        .size:           8
        .value_kind:     global_buffer
      - .actual_access:  read_only
        .address_space:  global
        .offset:         48
        .size:           8
        .value_kind:     global_buffer
      - .offset:         56
        .size:           4
        .value_kind:     by_value
      - .actual_access:  read_only
        .address_space:  global
        .offset:         64
        .size:           8
        .value_kind:     global_buffer
      - .actual_access:  read_only
        .address_space:  global
        .offset:         72
        .size:           8
        .value_kind:     global_buffer
      - .address_space:  global
        .offset:         80
        .size:           8
        .value_kind:     global_buffer
    .group_segment_fixed_size: 0
    .kernarg_segment_align: 8
    .kernarg_segment_size: 88
    .language:       OpenCL C
    .language_version:
      - 2
      - 0
    .max_flat_workgroup_size: 64
    .name:           fft_rtc_fwd_len416_factors_13_2_16_wgs_64_tpt_32_sp_ip_CI_unitstride_sbrr_C2R_dirReg
    .private_segment_fixed_size: 0
    .sgpr_count:     23
    .sgpr_spill_count: 0
    .symbol:         fft_rtc_fwd_len416_factors_13_2_16_wgs_64_tpt_32_sp_ip_CI_unitstride_sbrr_C2R_dirReg.kd
    .uniform_work_group_size: 1
    .uses_dynamic_stack: false
    .vgpr_count:     63
    .vgpr_spill_count: 0
    .wavefront_size: 32
    .workgroup_processor_mode: 1
amdhsa.target:   amdgcn-amd-amdhsa--gfx1030
amdhsa.version:
  - 1
  - 2
...

	.end_amdgpu_metadata
